;; amdgpu-corpus repo=ROCm/rocFFT kind=compiled arch=gfx1201 opt=O3
	.text
	.amdgcn_target "amdgcn-amd-amdhsa--gfx1201"
	.amdhsa_code_object_version 6
	.protected	fft_rtc_fwd_len243_factors_3_9_9_wgs_108_tpt_27_halfLds_dim1_dp_op_CI_CI_unitstride_sbrr_C2R_dirReg ; -- Begin function fft_rtc_fwd_len243_factors_3_9_9_wgs_108_tpt_27_halfLds_dim1_dp_op_CI_CI_unitstride_sbrr_C2R_dirReg
	.globl	fft_rtc_fwd_len243_factors_3_9_9_wgs_108_tpt_27_halfLds_dim1_dp_op_CI_CI_unitstride_sbrr_C2R_dirReg
	.p2align	8
	.type	fft_rtc_fwd_len243_factors_3_9_9_wgs_108_tpt_27_halfLds_dim1_dp_op_CI_CI_unitstride_sbrr_C2R_dirReg,@function
fft_rtc_fwd_len243_factors_3_9_9_wgs_108_tpt_27_halfLds_dim1_dp_op_CI_CI_unitstride_sbrr_C2R_dirReg: ; @fft_rtc_fwd_len243_factors_3_9_9_wgs_108_tpt_27_halfLds_dim1_dp_op_CI_CI_unitstride_sbrr_C2R_dirReg
; %bb.0:
	s_load_b128 s[4:7], s[0:1], 0x18
	v_mul_u32_u24_e32 v2, 0x97c, v0
	v_mov_b32_e32 v6, 0
                                        ; implicit-def: $vgpr14
	s_delay_alu instid0(VALU_DEP_2) | instskip(SKIP_1) | instid1(VALU_DEP_2)
	v_lshrrev_b32_e32 v1, 16, v2
	v_bfe_u32 v2, v2, 16, 2
	v_lshl_add_u32 v5, ttmp9, 2, v1
	s_wait_kmcnt 0x0
	s_delay_alu instid0(VALU_DEP_1) | instskip(SKIP_1) | instid1(VALU_DEP_1)
	v_cmp_gt_u64_e32 vcc_lo, s[6:7], v[5:6]
	v_cmp_le_u64_e64 s2, s[6:7], v[5:6]
                                        ; implicit-def: $vgpr6
	s_and_saveexec_b32 s3, s2
	s_delay_alu instid0(SALU_CYCLE_1)
	s_xor_b32 s2, exec_lo, s3
; %bb.1:
	v_and_b32_e32 v1, 0xffff, v0
	s_delay_alu instid0(VALU_DEP_1) | instskip(NEXT) | instid1(VALU_DEP_1)
	v_mul_u32_u24_e32 v1, 0x97c, v1
	v_lshrrev_b32_e32 v1, 16, v1
	s_delay_alu instid0(VALU_DEP_1) | instskip(NEXT) | instid1(VALU_DEP_1)
	v_mul_lo_u16 v1, v1, 27
	v_sub_nc_u16 v14, v0, v1
                                        ; implicit-def: $vgpr1
                                        ; implicit-def: $vgpr0
	s_delay_alu instid0(VALU_DEP_1)
	v_and_b32_e32 v6, 0xffff, v14
; %bb.2:
	s_or_saveexec_b32 s3, s2
	s_load_b64 s[6:7], s[0:1], 0x0
	s_load_b64 s[4:5], s[4:5], 0x8
	v_mul_u32_u24_e32 v2, 0xf4, v2
                                        ; implicit-def: $vgpr4
	s_delay_alu instid0(VALU_DEP_1)
	v_lshlrev_b32_e32 v13, 4, v2
	s_xor_b32 exec_lo, exec_lo, s3
	s_cbranch_execz .LBB0_6
; %bb.3:
	s_clause 0x1
	s_load_b64 s[8:9], s[0:1], 0x10
	s_load_b64 s[10:11], s[0:1], 0x50
	v_mul_lo_u16 v1, v1, 27
	s_delay_alu instid0(VALU_DEP_1)
	v_sub_nc_u16 v14, v0, v1
	s_wait_kmcnt 0x0
	s_load_b64 s[8:9], s[8:9], 0x8
	s_wait_kmcnt 0x0
	v_mad_co_u64_u32 v[3:4], null, s8, v5, 0
	s_mov_b32 s8, exec_lo
	s_delay_alu instid0(VALU_DEP_1) | instskip(NEXT) | instid1(VALU_DEP_1)
	v_mad_co_u64_u32 v[6:7], null, s9, v5, v[4:5]
	v_mov_b32_e32 v4, v6
	v_and_b32_e32 v6, 0xffff, v14
	s_delay_alu instid0(VALU_DEP_1) | instskip(NEXT) | instid1(VALU_DEP_3)
	v_lshlrev_b32_e32 v11, 4, v6
	v_lshlrev_b64_e32 v[0:1], 4, v[3:4]
	s_delay_alu instid0(VALU_DEP_1) | instskip(NEXT) | instid1(VALU_DEP_1)
	v_add_co_u32 v0, s2, s10, v0
	v_add_co_ci_u32_e64 v1, s2, s11, v1, s2
	s_delay_alu instid0(VALU_DEP_2) | instskip(SKIP_1) | instid1(VALU_DEP_2)
	v_add_co_u32 v3, s2, v0, v11
	s_wait_alu 0xf1ff
	v_add_co_ci_u32_e64 v4, s2, 0, v1, s2
	s_clause 0x8
	global_load_b128 v[7:10], v[3:4], off
	global_load_b128 v[15:18], v[3:4], off offset:432
	global_load_b128 v[19:22], v[3:4], off offset:864
	;; [unrolled: 1-line block ×8, first 2 shown]
	v_add3_u32 v3, 0, v13, v11
	s_wait_loadcnt 0x8
	ds_store_b128 v3, v[7:10]
	s_wait_loadcnt 0x7
	ds_store_b128 v3, v[15:18] offset:432
	s_wait_loadcnt 0x6
	ds_store_b128 v3, v[19:22] offset:864
	;; [unrolled: 2-line block ×8, first 2 shown]
	v_cmpx_eq_u16_e32 26, v14
	s_cbranch_execz .LBB0_5
; %bb.4:
	global_load_b128 v[7:10], v[0:1], off offset:3888
	v_mov_b32_e32 v14, 26
	v_mov_b32_e32 v6, 26
	s_wait_loadcnt 0x0
	ds_store_b128 v3, v[7:10] offset:3472
.LBB0_5:
	s_wait_alu 0xfffe
	s_or_b32 exec_lo, exec_lo, s8
	v_mov_b32_e32 v4, v6
.LBB0_6:
	s_or_b32 exec_lo, exec_lo, s3
	v_lshl_add_u32 v11, v2, 4, 0
	v_lshlrev_b32_e32 v15, 4, v6
	global_wb scope:SCOPE_SE
	s_wait_dscnt 0x0
	s_wait_kmcnt 0x0
	s_barrier_signal -1
	s_barrier_wait -1
	global_inv scope:SCOPE_SE
	v_add_nc_u32_e32 v12, v11, v15
	v_sub_nc_u32_e32 v16, v11, v15
	v_cmp_ne_u16_e64 s2, 0, v14
	ds_load_b64 v[7:8], v12
	ds_load_b64 v[9:10], v16 offset:3888
	s_wait_dscnt 0x0
	v_add_f64_e32 v[0:1], v[7:8], v[9:10]
	v_add_f64_e64 v[2:3], v[7:8], -v[9:10]
	s_and_saveexec_b32 s3, s2
	s_wait_alu 0xfffe
	s_xor_b32 s2, exec_lo, s3
	s_cbranch_execz .LBB0_8
; %bb.7:
	v_and_b32_e32 v0, 0xffff, v14
	v_add_f64_e32 v[21:22], v[7:8], v[9:10]
	v_add_f64_e64 v[23:24], v[7:8], -v[9:10]
	s_delay_alu instid0(VALU_DEP_3)
	v_lshlrev_b32_e32 v0, 4, v0
	global_load_b128 v[17:20], v0, s[6:7] offset:3840
	ds_load_b64 v[0:1], v16 offset:3896
	ds_load_b64 v[2:3], v12 offset:8
	s_wait_dscnt 0x0
	v_add_f64_e32 v[7:8], v[0:1], v[2:3]
	v_add_f64_e64 v[0:1], v[2:3], -v[0:1]
	s_wait_loadcnt 0x0
	v_fma_f64 v[2:3], v[23:24], v[19:20], v[21:22]
	v_fma_f64 v[9:10], -v[23:24], v[19:20], v[21:22]
	s_delay_alu instid0(VALU_DEP_3) | instskip(SKIP_1) | instid1(VALU_DEP_4)
	v_fma_f64 v[21:22], v[7:8], v[19:20], -v[0:1]
	v_fma_f64 v[19:20], v[7:8], v[19:20], v[0:1]
	v_fma_f64 v[0:1], -v[7:8], v[17:18], v[2:3]
	s_delay_alu instid0(VALU_DEP_4) | instskip(NEXT) | instid1(VALU_DEP_4)
	v_fma_f64 v[7:8], v[7:8], v[17:18], v[9:10]
	v_fma_f64 v[9:10], v[23:24], v[17:18], v[21:22]
	s_delay_alu instid0(VALU_DEP_4)
	v_fma_f64 v[2:3], v[23:24], v[17:18], v[19:20]
	ds_store_b128 v16, v[7:10] offset:3888
.LBB0_8:
	s_wait_alu 0xfffe
	s_and_not1_saveexec_b32 s2, s2
	s_wait_alu 0xfffe
	s_or_b32 exec_lo, exec_lo, s2
	v_mov_b32_e32 v7, 0
	s_add_nc_u64 s[2:3], s[6:7], 0xf00
	s_delay_alu instid0(VALU_DEP_1) | instskip(SKIP_1) | instid1(VALU_DEP_1)
	v_lshlrev_b64_e32 v[8:9], 4, v[6:7]
	s_wait_alu 0xfffe
	v_add_co_u32 v8, s2, s2, v8
	s_wait_alu 0xf1ff
	s_delay_alu instid0(VALU_DEP_2)
	v_add_co_ci_u32_e64 v9, s2, s3, v9, s2
	s_mov_b32 s3, exec_lo
	s_clause 0x1
	global_load_b128 v[17:20], v[8:9], off offset:432
	global_load_b128 v[21:24], v[8:9], off offset:864
	ds_store_b128 v12, v[0:3]
	ds_load_b128 v[0:3], v12 offset:432
	ds_load_b128 v[25:28], v16 offset:3456
	global_load_b128 v[29:32], v[8:9], off offset:1296
	s_wait_dscnt 0x0
	v_add_f64_e32 v[33:34], v[0:1], v[25:26]
	v_add_f64_e32 v[35:36], v[27:28], v[2:3]
	v_add_f64_e64 v[37:38], v[0:1], -v[25:26]
	v_add_f64_e64 v[0:1], v[2:3], -v[27:28]
	s_wait_loadcnt 0x2
	s_delay_alu instid0(VALU_DEP_2) | instskip(NEXT) | instid1(VALU_DEP_2)
	v_fma_f64 v[2:3], v[37:38], v[19:20], v[33:34]
	v_fma_f64 v[25:26], v[35:36], v[19:20], v[0:1]
	v_fma_f64 v[27:28], -v[37:38], v[19:20], v[33:34]
	v_fma_f64 v[19:20], v[35:36], v[19:20], -v[0:1]
	s_delay_alu instid0(VALU_DEP_4) | instskip(NEXT) | instid1(VALU_DEP_4)
	v_fma_f64 v[0:1], -v[35:36], v[17:18], v[2:3]
	v_fma_f64 v[2:3], v[37:38], v[17:18], v[25:26]
	s_delay_alu instid0(VALU_DEP_4) | instskip(NEXT) | instid1(VALU_DEP_4)
	v_fma_f64 v[25:26], v[35:36], v[17:18], v[27:28]
	v_fma_f64 v[27:28], v[37:38], v[17:18], v[19:20]
	ds_store_b128 v12, v[0:3] offset:432
	ds_store_b128 v16, v[25:28] offset:3456
	ds_load_b128 v[0:3], v12 offset:864
	ds_load_b128 v[17:20], v16 offset:3024
	s_wait_dscnt 0x0
	v_add_f64_e32 v[25:26], v[0:1], v[17:18]
	v_add_f64_e32 v[27:28], v[19:20], v[2:3]
	v_add_f64_e64 v[33:34], v[0:1], -v[17:18]
	v_add_f64_e64 v[0:1], v[2:3], -v[19:20]
	s_wait_loadcnt 0x1
	s_delay_alu instid0(VALU_DEP_2) | instskip(NEXT) | instid1(VALU_DEP_2)
	v_fma_f64 v[2:3], v[33:34], v[23:24], v[25:26]
	v_fma_f64 v[17:18], v[27:28], v[23:24], v[0:1]
	v_fma_f64 v[19:20], -v[33:34], v[23:24], v[25:26]
	v_fma_f64 v[23:24], v[27:28], v[23:24], -v[0:1]
	s_delay_alu instid0(VALU_DEP_4) | instskip(NEXT) | instid1(VALU_DEP_4)
	v_fma_f64 v[0:1], -v[27:28], v[21:22], v[2:3]
	v_fma_f64 v[2:3], v[33:34], v[21:22], v[17:18]
	s_delay_alu instid0(VALU_DEP_4) | instskip(NEXT) | instid1(VALU_DEP_4)
	v_fma_f64 v[17:18], v[27:28], v[21:22], v[19:20]
	v_fma_f64 v[19:20], v[33:34], v[21:22], v[23:24]
	ds_store_b128 v12, v[0:3] offset:864
	ds_store_b128 v16, v[17:20] offset:3024
	ds_load_b128 v[0:3], v12 offset:1296
	ds_load_b128 v[17:20], v16 offset:2592
	s_wait_dscnt 0x0
	v_add_f64_e32 v[21:22], v[0:1], v[17:18]
	v_add_f64_e32 v[23:24], v[19:20], v[2:3]
	v_add_f64_e64 v[25:26], v[0:1], -v[17:18]
	v_add_f64_e64 v[0:1], v[2:3], -v[19:20]
	s_wait_loadcnt 0x0
	s_delay_alu instid0(VALU_DEP_2) | instskip(NEXT) | instid1(VALU_DEP_2)
	v_fma_f64 v[2:3], v[25:26], v[31:32], v[21:22]
	v_fma_f64 v[17:18], v[23:24], v[31:32], v[0:1]
	v_fma_f64 v[19:20], -v[25:26], v[31:32], v[21:22]
	v_fma_f64 v[21:22], v[23:24], v[31:32], -v[0:1]
	s_delay_alu instid0(VALU_DEP_4) | instskip(NEXT) | instid1(VALU_DEP_4)
	v_fma_f64 v[0:1], -v[23:24], v[29:30], v[2:3]
	v_fma_f64 v[2:3], v[25:26], v[29:30], v[17:18]
	s_delay_alu instid0(VALU_DEP_4) | instskip(NEXT) | instid1(VALU_DEP_4)
	v_fma_f64 v[17:18], v[23:24], v[29:30], v[19:20]
	v_fma_f64 v[19:20], v[25:26], v[29:30], v[21:22]
	ds_store_b128 v12, v[0:3] offset:1296
	ds_store_b128 v16, v[17:20] offset:2592
	v_cmpx_gt_u16_e32 14, v14
	s_cbranch_execz .LBB0_10
; %bb.9:
	global_load_b128 v[0:3], v[8:9], off offset:1728
	ds_load_b128 v[17:20], v12 offset:1728
	ds_load_b128 v[21:24], v16 offset:2160
	s_wait_dscnt 0x0
	v_add_f64_e32 v[8:9], v[17:18], v[21:22]
	v_add_f64_e32 v[25:26], v[23:24], v[19:20]
	v_add_f64_e64 v[27:28], v[17:18], -v[21:22]
	v_add_f64_e64 v[17:18], v[19:20], -v[23:24]
	s_wait_loadcnt 0x0
	s_delay_alu instid0(VALU_DEP_2) | instskip(NEXT) | instid1(VALU_DEP_2)
	v_fma_f64 v[19:20], v[27:28], v[2:3], v[8:9]
	v_fma_f64 v[21:22], v[25:26], v[2:3], v[17:18]
	v_fma_f64 v[8:9], -v[27:28], v[2:3], v[8:9]
	v_fma_f64 v[2:3], v[25:26], v[2:3], -v[17:18]
	s_delay_alu instid0(VALU_DEP_4) | instskip(NEXT) | instid1(VALU_DEP_4)
	v_fma_f64 v[17:18], -v[25:26], v[0:1], v[19:20]
	v_fma_f64 v[19:20], v[27:28], v[0:1], v[21:22]
	s_delay_alu instid0(VALU_DEP_4) | instskip(NEXT) | instid1(VALU_DEP_4)
	v_fma_f64 v[21:22], v[25:26], v[0:1], v[8:9]
	v_fma_f64 v[23:24], v[27:28], v[0:1], v[2:3]
	ds_store_b128 v12, v[17:20] offset:1728
	ds_store_b128 v16, v[21:24] offset:2160
.LBB0_10:
	s_wait_alu 0xfffe
	s_or_b32 exec_lo, exec_lo, s3
	v_add3_u32 v0, 0, v15, v13
	global_wb scope:SCOPE_SE
	s_wait_dscnt 0x0
	s_barrier_signal -1
	s_barrier_wait -1
	global_inv scope:SCOPE_SE
	global_wb scope:SCOPE_SE
	s_barrier_signal -1
	s_barrier_wait -1
	global_inv scope:SCOPE_SE
	ds_load_b128 v[15:18], v0 offset:1296
	ds_load_b128 v[19:22], v0 offset:2592
	;; [unrolled: 1-line block ×7, first 2 shown]
	ds_load_b128 v[43:46], v12
	ds_load_b128 v[47:50], v0 offset:432
	s_mov_b32 s8, 0xe8584caa
	s_mov_b32 s9, 0x3febb67a
	s_mov_b32 s11, 0xbfebb67a
	s_wait_alu 0xfffe
	s_mov_b32 s10, s8
	v_and_b32_e32 v3, 0xff, v14
	global_wb scope:SCOPE_SE
	s_wait_dscnt 0x0
	s_barrier_signal -1
	s_barrier_wait -1
	global_inv scope:SCOPE_SE
	s_mov_b32 s18, 0x523c161c
	s_mov_b32 s12, 0x8c811c17
	;; [unrolled: 1-line block ×4, first 2 shown]
	v_add_f64_e32 v[1:2], v[15:16], v[19:20]
	v_add_f64_e32 v[8:9], v[17:18], v[21:22]
	;; [unrolled: 1-line block ×7, first 2 shown]
	v_add_f64_e64 v[61:62], v[17:18], -v[21:22]
	v_add_f64_e32 v[17:18], v[45:46], v[17:18]
	v_add_f64_e32 v[63:64], v[47:48], v[27:28]
	;; [unrolled: 1-line block ×5, first 2 shown]
	v_add_f64_e64 v[71:72], v[31:32], -v[35:36]
	s_mov_b32 s13, 0x3fef838b
	s_mov_b32 s15, 0x3fe8836f
	;; [unrolled: 1-line block ×10, first 2 shown]
	v_fma_f64 v[1:2], v[1:2], -0.5, v[43:44]
	v_add_f64_e64 v[43:44], v[15:16], -v[19:20]
	v_fma_f64 v[8:9], v[8:9], -0.5, v[45:46]
	v_add_f64_e64 v[45:46], v[29:30], -v[25:26]
	;; [unrolled: 2-line block ×4, first 2 shown]
	v_fma_f64 v[55:56], v[55:56], -0.5, v[39:40]
	v_fma_f64 v[57:58], v[57:58], -0.5, v[41:42]
	v_add_f64_e32 v[15:16], v[59:60], v[19:20]
	v_add_f64_e32 v[17:18], v[17:18], v[21:22]
	;; [unrolled: 1-line block ×6, first 2 shown]
	v_fma_f64 v[27:28], v[61:62], s[8:9], v[1:2]
	s_wait_alu 0xfffe
	v_fma_f64 v[31:32], v[61:62], s[10:11], v[1:2]
	v_fma_f64 v[29:30], v[43:44], s[10:11], v[8:9]
	;; [unrolled: 1-line block ×11, first 2 shown]
	v_mul_lo_u16 v1, 0xab, v3
	v_lshl_add_u32 v3, v6, 5, v0
	s_mov_b32 s8, 0xe8584cab
	v_lshlrev_b32_e32 v6, 3, v6
	s_wait_alu 0xfffe
	s_mov_b32 s10, s8
	v_lshrrev_b16 v1, 9, v1
	v_add_nc_u32_e32 v10, 0x800, v3
	ds_store_b128 v3, v[23:26] offset:2592
	ds_store_b128 v3, v[15:18]
	ds_store_b128 v3, v[27:30] offset:16
	ds_store_b128 v3, v[31:34] offset:32
	;; [unrolled: 1-line block ×5, first 2 shown]
	ds_store_2addr_b64 v10, v[8:9], v[45:46] offset0:70 offset1:71
	ds_store_2addr_b64 v10, v[43:44], v[47:48] offset0:72 offset1:73
	v_mul_lo_u16 v2, v1, 3
	global_wb scope:SCOPE_SE
	s_wait_dscnt 0x0
	s_barrier_signal -1
	s_barrier_wait -1
	global_inv scope:SCOPE_SE
	v_sub_nc_u16 v2, v14, v2
	v_and_b32_e32 v1, 0xffff, v1
	v_lshlrev_b64_e32 v[6:7], 4, v[6:7]
	s_delay_alu instid0(VALU_DEP_3) | instskip(NEXT) | instid1(VALU_DEP_3)
	v_and_b32_e32 v2, 0xff, v2
	v_mad_u32_u24 v3, 0x1b0, v1, 0
	s_delay_alu instid0(VALU_DEP_3) | instskip(NEXT) | instid1(VALU_DEP_3)
	v_add_co_u32 v1, s2, s6, v6
	v_lshlrev_b32_e32 v49, 7, v2
	s_clause 0x7
	global_load_b128 v[14:17], v49, s[6:7]
	global_load_b128 v[18:21], v49, s[6:7] offset:48
	global_load_b128 v[22:25], v49, s[6:7] offset:112
	;; [unrolled: 1-line block ×7, first 2 shown]
	ds_load_b128 v[46:49], v0 offset:432
	ds_load_b128 v[50:53], v0 offset:1728
	;; [unrolled: 1-line block ×7, first 2 shown]
	s_wait_loadcnt_dscnt 0x706
	v_mul_f64_e32 v[8:9], v[48:49], v[16:17]
	v_mul_f64_e32 v[16:17], v[46:47], v[16:17]
	s_wait_loadcnt_dscnt 0x605
	v_mul_f64_e32 v[74:75], v[52:53], v[20:21]
	s_wait_loadcnt_dscnt 0x504
	v_mul_f64_e32 v[76:77], v[56:57], v[24:25]
	v_mul_f64_e32 v[24:25], v[54:55], v[24:25]
	;; [unrolled: 1-line block ×3, first 2 shown]
	s_wait_loadcnt_dscnt 0x403
	v_mul_f64_e32 v[78:79], v[60:61], v[28:29]
	v_mul_f64_e32 v[28:29], v[58:59], v[28:29]
	s_wait_loadcnt_dscnt 0x302
	v_mul_f64_e32 v[80:81], v[64:65], v[32:33]
	v_mul_f64_e32 v[32:33], v[62:63], v[32:33]
	;; [unrolled: 3-line block ×3, first 2 shown]
	v_fma_f64 v[8:9], v[46:47], v[14:15], -v[8:9]
	v_fma_f64 v[46:47], v[48:49], v[14:15], v[16:17]
	v_fma_f64 v[48:49], v[50:51], v[18:19], -v[74:75]
	v_fma_f64 v[50:51], v[54:55], v[22:23], -v[76:77]
	v_fma_f64 v[22:23], v[56:57], v[22:23], v[24:25]
	v_fma_f64 v[24:25], v[52:53], v[18:19], v[20:21]
	v_fma_f64 v[52:53], v[58:59], v[26:27], -v[78:79]
	v_fma_f64 v[26:27], v[60:61], v[26:27], v[28:29]
	v_fma_f64 v[28:29], v[62:63], v[30:31], -v[80:81]
	v_fma_f64 v[30:31], v[64:65], v[30:31], v[32:33]
	v_fma_f64 v[32:33], v[66:67], v[34:35], -v[82:83]
	v_fma_f64 v[34:35], v[68:69], v[34:35], v[36:37]
	ds_load_b128 v[14:17], v0 offset:2592
	ds_load_b128 v[18:21], v12
	s_wait_loadcnt_dscnt 0x102
	v_mul_f64_e32 v[36:37], v[72:73], v[40:41]
	v_mul_f64_e32 v[40:41], v[70:71], v[40:41]
	global_wb scope:SCOPE_SE
	s_wait_loadcnt_dscnt 0x0
	s_barrier_signal -1
	s_barrier_wait -1
	global_inv scope:SCOPE_SE
	v_mul_f64_e32 v[54:55], v[16:17], v[44:45]
	v_mul_f64_e32 v[44:45], v[14:15], v[44:45]
	v_add_f64_e64 v[56:57], v[8:9], -v[50:51]
	v_add_f64_e64 v[58:59], v[46:47], -v[22:23]
	v_add_f64_e32 v[8:9], v[8:9], v[50:51]
	v_add_f64_e64 v[50:51], v[48:49], -v[52:53]
	v_add_f64_e64 v[60:61], v[24:25], -v[26:27]
	v_add_f64_e32 v[66:67], v[48:49], v[52:53]
	v_add_f64_e32 v[68:69], v[24:25], v[26:27]
	;; [unrolled: 1-line block ×5, first 2 shown]
	v_add_f64_e64 v[28:29], v[28:29], -v[32:33]
	v_fma_f64 v[36:37], v[70:71], v[38:39], -v[36:37]
	v_fma_f64 v[38:39], v[72:73], v[38:39], v[40:41]
	v_add_f64_e64 v[30:31], v[30:31], -v[34:35]
	v_fma_f64 v[14:15], v[14:15], v[42:43], -v[54:55]
	v_fma_f64 v[16:17], v[16:17], v[42:43], v[44:45]
	v_mul_f64_e32 v[32:33], s[18:19], v[56:57]
	v_mul_f64_e32 v[34:35], s[18:19], v[58:59]
	v_fma_f64 v[40:41], v[8:9], s[14:15], v[18:19]
	v_mul_f64_e32 v[42:43], s[16:17], v[50:51]
	v_mul_f64_e32 v[44:45], s[16:17], v[60:61]
	;; [unrolled: 1-line block ×4, first 2 shown]
	v_fma_f64 v[70:71], v[62:63], s[14:15], v[18:19]
	v_fma_f64 v[72:73], v[64:65], s[14:15], v[20:21]
	;; [unrolled: 1-line block ×5, first 2 shown]
	v_add_f64_e32 v[84:85], v[62:63], v[8:9]
	v_add_f64_e32 v[86:87], v[64:65], v[22:23]
	v_add_f64_e32 v[80:81], v[36:37], v[14:15]
	v_add_f64_e32 v[82:83], v[38:39], v[16:17]
	v_add_f64_e64 v[14:15], v[36:37], -v[14:15]
	v_add_f64_e64 v[16:17], v[38:39], -v[16:17]
	v_fma_f64 v[32:33], v[28:29], s[12:13], v[32:33]
	v_fma_f64 v[34:35], v[30:31], s[12:13], v[34:35]
	v_fma_f64 v[36:37], v[62:63], s[20:21], v[40:41]
	v_fma_f64 v[38:39], v[56:57], s[12:13], v[42:43]
	v_fma_f64 v[40:41], v[58:59], s[12:13], v[44:45]
	v_fma_f64 v[42:43], v[28:29], s[16:17], -v[46:47]
	v_fma_f64 v[44:45], v[30:31], s[16:17], -v[54:55]
	v_fma_f64 v[46:47], v[66:67], s[20:21], v[70:71]
	v_fma_f64 v[54:55], v[68:69], s[20:21], v[72:73]
	;; [unrolled: 1-line block ×5, first 2 shown]
	v_add_f64_e32 v[92:93], v[66:67], v[84:85]
	v_add_f64_e32 v[94:95], v[68:69], v[86:87]
	;; [unrolled: 1-line block ×8, first 2 shown]
	v_fma_f64 v[32:33], v[14:15], s[8:9], v[32:33]
	v_fma_f64 v[34:35], v[16:17], s[8:9], v[34:35]
	v_fma_f64 v[36:37], v[80:81], -0.5, v[36:37]
	s_wait_alu 0xfffe
	v_fma_f64 v[38:39], v[14:15], s[10:11], v[38:39]
	v_fma_f64 v[40:41], v[16:17], s[10:11], v[40:41]
	;; [unrolled: 1-line block ×4, first 2 shown]
	v_fma_f64 v[42:43], v[80:81], -0.5, v[46:47]
	v_fma_f64 v[44:45], v[82:83], -0.5, v[54:55]
	v_fma_f64 v[46:47], v[80:81], -0.5, v[70:71]
	v_fma_f64 v[54:55], v[82:83], -0.5, v[72:73]
	v_fma_f64 v[70:71], v[82:83], -0.5, v[74:75]
	v_add_f64_e64 v[72:73], v[76:77], -v[28:29]
	v_add_f64_e64 v[74:75], v[78:79], -v[30:31]
	v_add_f64_e32 v[48:49], v[48:49], v[84:85]
	v_add_f64_e32 v[24:25], v[24:25], v[86:87]
	v_fma_f64 v[76:77], v[92:93], -0.5, v[88:89]
	v_fma_f64 v[78:79], v[94:95], -0.5, v[90:91]
	v_fma_f64 v[50:51], v[50:51], s[24:25], v[32:33]
	v_fma_f64 v[60:61], v[60:61], s[24:25], v[34:35]
	;; [unrolled: 1-line block ×12, first 2 shown]
	v_mul_f64_e32 v[38:39], s[8:9], v[72:73]
	v_mul_f64_e32 v[42:43], s[8:9], v[74:75]
	v_add_f64_e32 v[44:45], v[52:53], v[48:49]
	v_add_f64_e32 v[46:47], v[26:27], v[24:25]
	v_fma_f64 v[14:15], v[74:75], s[8:9], v[76:77]
	v_fma_f64 v[16:17], v[72:73], s[10:11], v[78:79]
	v_add_f64_e32 v[22:23], v[60:61], v[32:33]
	v_add_f64_e32 v[26:27], v[58:59], v[8:9]
	v_add_f64_e64 v[28:29], v[28:29], -v[56:57]
	v_add_f64_e32 v[30:31], v[40:41], v[30:31]
	v_add_f64_e64 v[32:33], v[34:35], -v[66:67]
	v_add_f64_e64 v[24:25], v[36:37], -v[50:51]
	v_lshlrev_b32_e32 v8, 4, v2
	s_wait_alu 0xf1ff
	v_add_co_ci_u32_e64 v2, s2, s7, v7, s2
	s_delay_alu instid0(VALU_DEP_2)
	v_add3_u32 v3, v3, v8, v13
	v_add_f64_e32 v[18:19], v[18:19], v[44:45]
	v_add_f64_e32 v[20:21], v[20:21], v[46:47]
	v_fma_f64 v[34:35], v[42:43], -2.0, v[14:15]
	v_fma_f64 v[36:37], v[38:39], 2.0, v[16:17]
	v_fma_f64 v[38:39], v[60:61], -2.0, v[22:23]
	v_fma_f64 v[42:43], v[58:59], -2.0, v[26:27]
	v_fma_f64 v[44:45], v[56:57], 2.0, v[28:29]
	v_fma_f64 v[46:47], v[40:41], -2.0, v[30:31]
	v_fma_f64 v[48:49], v[66:67], 2.0, v[32:33]
	v_fma_f64 v[40:41], v[50:51], 2.0, v[24:25]
	ds_store_b128 v3, v[18:21]
	ds_store_b128 v3, v[22:25] offset:48
	ds_store_b128 v3, v[30:33] offset:96
	;; [unrolled: 1-line block ×8, first 2 shown]
	global_wb scope:SCOPE_SE
	s_wait_dscnt 0x0
	s_barrier_signal -1
	s_barrier_wait -1
	global_inv scope:SCOPE_SE
	s_clause 0x7
	global_load_b128 v[6:9], v[1:2], off offset:384
	global_load_b128 v[13:16], v[1:2], off offset:432
	;; [unrolled: 1-line block ×8, first 2 shown]
	ds_load_b128 v[41:44], v0 offset:432
	ds_load_b128 v[45:48], v0 offset:1728
	;; [unrolled: 1-line block ×7, first 2 shown]
	s_wait_loadcnt_dscnt 0x706
	v_mul_f64_e32 v[1:2], v[43:44], v[8:9]
	v_mul_f64_e32 v[8:9], v[41:42], v[8:9]
	s_wait_loadcnt_dscnt 0x605
	v_mul_f64_e32 v[69:70], v[47:48], v[15:16]
	s_wait_loadcnt_dscnt 0x504
	v_mul_f64_e32 v[71:72], v[51:52], v[19:20]
	v_mul_f64_e32 v[19:20], v[49:50], v[19:20]
	;; [unrolled: 1-line block ×3, first 2 shown]
	s_wait_loadcnt_dscnt 0x403
	v_mul_f64_e32 v[73:74], v[55:56], v[23:24]
	v_mul_f64_e32 v[23:24], v[53:54], v[23:24]
	s_wait_loadcnt_dscnt 0x302
	v_mul_f64_e32 v[75:76], v[59:60], v[27:28]
	v_mul_f64_e32 v[27:28], v[57:58], v[27:28]
	;; [unrolled: 3-line block ×3, first 2 shown]
	v_fma_f64 v[1:2], v[41:42], v[6:7], -v[1:2]
	v_fma_f64 v[41:42], v[43:44], v[6:7], v[8:9]
	v_fma_f64 v[43:44], v[45:46], v[13:14], -v[69:70]
	v_fma_f64 v[45:46], v[49:50], v[17:18], -v[71:72]
	v_fma_f64 v[17:18], v[51:52], v[17:18], v[19:20]
	v_fma_f64 v[19:20], v[47:48], v[13:14], v[15:16]
	v_fma_f64 v[47:48], v[53:54], v[21:22], -v[73:74]
	v_fma_f64 v[21:22], v[55:56], v[21:22], v[23:24]
	v_fma_f64 v[23:24], v[57:58], v[25:26], -v[75:76]
	;; [unrolled: 2-line block ×3, first 2 shown]
	v_fma_f64 v[29:30], v[63:64], v[29:30], v[31:32]
	ds_load_b128 v[6:9], v0 offset:2592
	ds_load_b128 v[12:15], v12
	s_wait_loadcnt_dscnt 0x102
	v_mul_f64_e32 v[31:32], v[67:68], v[35:36]
	v_mul_f64_e32 v[35:36], v[65:66], v[35:36]
	global_wb scope:SCOPE_SE
	s_wait_loadcnt_dscnt 0x0
	s_barrier_signal -1
	s_barrier_wait -1
	global_inv scope:SCOPE_SE
	v_mul_f64_e32 v[49:50], v[8:9], v[39:40]
	v_mul_f64_e32 v[39:40], v[6:7], v[39:40]
	v_add_f64_e64 v[51:52], v[1:2], -v[45:46]
	v_add_f64_e64 v[53:54], v[41:42], -v[17:18]
	v_add_f64_e32 v[1:2], v[1:2], v[45:46]
	v_add_f64_e64 v[45:46], v[43:44], -v[47:48]
	v_add_f64_e64 v[55:56], v[19:20], -v[21:22]
	v_add_f64_e32 v[61:62], v[43:44], v[47:48]
	v_add_f64_e32 v[63:64], v[19:20], v[21:22]
	;; [unrolled: 1-line block ×5, first 2 shown]
	v_add_f64_e64 v[23:24], v[23:24], -v[27:28]
	v_fma_f64 v[31:32], v[65:66], v[33:34], -v[31:32]
	v_fma_f64 v[33:34], v[67:68], v[33:34], v[35:36]
	v_add_f64_e64 v[25:26], v[25:26], -v[29:30]
	v_fma_f64 v[6:7], v[6:7], v[37:38], -v[49:50]
	v_fma_f64 v[8:9], v[8:9], v[37:38], v[39:40]
	v_mul_f64_e32 v[27:28], s[18:19], v[51:52]
	v_mul_f64_e32 v[29:30], s[18:19], v[53:54]
	v_fma_f64 v[35:36], v[1:2], s[14:15], v[12:13]
	v_mul_f64_e32 v[37:38], s[16:17], v[45:46]
	v_mul_f64_e32 v[39:40], s[16:17], v[55:56]
	;; [unrolled: 1-line block ×4, first 2 shown]
	v_fma_f64 v[65:66], v[57:58], s[14:15], v[12:13]
	v_fma_f64 v[67:68], v[59:60], s[14:15], v[14:15]
	v_fma_f64 v[69:70], v[61:62], s[14:15], v[12:13]
	v_fma_f64 v[71:72], v[63:64], s[14:15], v[14:15]
	v_fma_f64 v[73:74], v[16:17], s[14:15], v[14:15]
	v_add_f64_e32 v[79:80], v[57:58], v[1:2]
	v_add_f64_e32 v[81:82], v[59:60], v[16:17]
	;; [unrolled: 1-line block ×4, first 2 shown]
	v_add_f64_e64 v[6:7], v[31:32], -v[6:7]
	v_add_f64_e64 v[8:9], v[33:34], -v[8:9]
	v_fma_f64 v[27:28], v[23:24], s[12:13], v[27:28]
	v_fma_f64 v[29:30], v[25:26], s[12:13], v[29:30]
	;; [unrolled: 1-line block ×5, first 2 shown]
	v_fma_f64 v[37:38], v[23:24], s[16:17], -v[41:42]
	v_fma_f64 v[39:40], v[25:26], s[16:17], -v[49:50]
	v_fma_f64 v[41:42], v[61:62], s[20:21], v[65:66]
	v_fma_f64 v[49:50], v[63:64], s[20:21], v[67:68]
	;; [unrolled: 1-line block ×5, first 2 shown]
	v_add_f64_e32 v[87:88], v[61:62], v[79:80]
	v_add_f64_e32 v[89:90], v[63:64], v[81:82]
	;; [unrolled: 1-line block ×8, first 2 shown]
	v_fma_f64 v[27:28], v[6:7], s[8:9], v[27:28]
	v_fma_f64 v[29:30], v[8:9], s[8:9], v[29:30]
	v_fma_f64 v[31:32], v[75:76], -0.5, v[31:32]
	v_fma_f64 v[33:34], v[6:7], s[10:11], v[33:34]
	v_fma_f64 v[35:36], v[8:9], s[10:11], v[35:36]
	;; [unrolled: 1-line block ×4, first 2 shown]
	v_fma_f64 v[37:38], v[75:76], -0.5, v[41:42]
	v_fma_f64 v[39:40], v[77:78], -0.5, v[49:50]
	;; [unrolled: 1-line block ×5, first 2 shown]
	v_add_f64_e64 v[67:68], v[71:72], -v[23:24]
	v_add_f64_e64 v[69:70], v[73:74], -v[25:26]
	v_add_f64_e32 v[43:44], v[43:44], v[79:80]
	v_add_f64_e32 v[18:19], v[19:20], v[81:82]
	v_fma_f64 v[71:72], v[87:88], -0.5, v[83:84]
	v_fma_f64 v[73:74], v[89:90], -0.5, v[85:86]
	v_fma_f64 v[45:46], v[45:46], s[24:25], v[27:28]
	v_fma_f64 v[55:56], v[55:56], s[24:25], v[29:30]
	;; [unrolled: 1-line block ×12, first 2 shown]
	v_mul_f64_e32 v[36:37], s[8:9], v[67:68]
	v_mul_f64_e32 v[38:39], s[8:9], v[69:70]
	v_add_f64_e32 v[40:41], v[47:48], v[43:44]
	v_add_f64_e32 v[42:43], v[21:22], v[18:19]
	v_fma_f64 v[6:7], v[69:70], s[8:9], v[71:72]
	v_fma_f64 v[8:9], v[67:68], s[10:11], v[73:74]
	v_add_f64_e32 v[16:17], v[55:56], v[27:28]
	v_add_f64_e32 v[20:21], v[53:54], v[1:2]
	v_add_f64_e64 v[22:23], v[23:24], -v[51:52]
	v_add_f64_e32 v[24:25], v[34:35], v[25:26]
	v_add_f64_e64 v[26:27], v[29:30], -v[61:62]
	v_add_f64_e64 v[18:19], v[31:32], -v[45:46]
	v_add_f64_e32 v[12:13], v[12:13], v[40:41]
	v_add_f64_e32 v[14:15], v[14:15], v[42:43]
	v_fma_f64 v[28:29], v[38:39], -2.0, v[6:7]
	v_fma_f64 v[30:31], v[36:37], 2.0, v[8:9]
	v_fma_f64 v[32:33], v[55:56], -2.0, v[16:17]
	v_fma_f64 v[36:37], v[53:54], -2.0, v[20:21]
	v_fma_f64 v[38:39], v[51:52], 2.0, v[22:23]
	v_fma_f64 v[40:41], v[34:35], -2.0, v[24:25]
	v_fma_f64 v[42:43], v[61:62], 2.0, v[26:27]
	v_fma_f64 v[34:35], v[45:46], 2.0, v[18:19]
	ds_store_b128 v0, v[12:15]
	ds_store_b128 v0, v[16:19] offset:432
	ds_store_b128 v0, v[24:27] offset:864
	;; [unrolled: 1-line block ×8, first 2 shown]
	global_wb scope:SCOPE_SE
	s_wait_dscnt 0x0
	s_barrier_signal -1
	s_barrier_wait -1
	global_inv scope:SCOPE_SE
	s_and_saveexec_b32 s2, vcc_lo
	s_cbranch_execz .LBB0_12
; %bb.11:
	v_mad_co_u64_u32 v[12:13], null, s4, v5, 0
	s_load_b64 s[0:1], s[0:1], 0x58
	v_lshl_add_u32 v30, v4, 4, v11
	s_delay_alu instid0(VALU_DEP_2) | instskip(NEXT) | instid1(VALU_DEP_1)
	v_mov_b32_e32 v0, v13
	v_mad_co_u64_u32 v[0:1], null, s5, v5, v[0:1]
	v_dual_mov_b32 v5, 0 :: v_dual_add_nc_u32 v20, 54, v4
	v_add_nc_u32_e32 v18, 27, v4
	s_delay_alu instid0(VALU_DEP_2) | instskip(NEXT) | instid1(VALU_DEP_4)
	v_dual_mov_b32 v21, v5 :: v_dual_add_nc_u32 v22, 0x51, v4
	v_mov_b32_e32 v13, v0
	ds_load_b128 v[0:3], v30
	ds_load_b128 v[6:9], v30 offset:432
	v_mov_b32_e32 v19, v5
	v_lshlrev_b64_e32 v[24:25], 4, v[4:5]
	v_mov_b32_e32 v23, v5
	v_lshlrev_b64_e32 v[26:27], 4, v[12:13]
	ds_load_b128 v[10:13], v30 offset:864
	ds_load_b128 v[14:17], v30 offset:1296
	v_lshlrev_b64_e32 v[18:19], 4, v[18:19]
	v_lshlrev_b64_e32 v[20:21], 4, v[20:21]
	s_wait_kmcnt 0x0
	v_add_co_u32 v31, vcc_lo, s0, v26
	v_add_nc_u32_e32 v26, 0x6c, v4
	v_add_co_ci_u32_e32 v32, vcc_lo, s1, v27, vcc_lo
	s_delay_alu instid0(VALU_DEP_3) | instskip(SKIP_2) | instid1(VALU_DEP_3)
	v_add_co_u32 v24, vcc_lo, v31, v24
	v_lshlrev_b64_e32 v[22:23], 4, v[22:23]
	s_wait_alu 0xfffd
	v_add_co_ci_u32_e32 v25, vcc_lo, v32, v25, vcc_lo
	v_add_co_u32 v18, vcc_lo, v31, v18
	s_wait_alu 0xfffd
	v_add_co_ci_u32_e32 v19, vcc_lo, v32, v19, vcc_lo
	v_add_co_u32 v20, vcc_lo, v31, v20
	v_mov_b32_e32 v27, v5
	s_wait_alu 0xfffd
	v_add_co_ci_u32_e32 v21, vcc_lo, v32, v21, vcc_lo
	v_add_co_u32 v22, vcc_lo, v31, v22
	s_wait_dscnt 0x3
	global_store_b128 v[24:25], v[0:3], off
	s_wait_dscnt 0x2
	global_store_b128 v[18:19], v[6:9], off
	v_dual_mov_b32 v3, v5 :: v_dual_add_nc_u32 v2, 0x87, v4
	s_wait_alu 0xfffd
	v_add_co_ci_u32_e32 v23, vcc_lo, v32, v23, vcc_lo
	v_lshlrev_b64_e32 v[0:1], 4, v[26:27]
	s_wait_dscnt 0x1
	global_store_b128 v[20:21], v[10:13], off
	s_wait_dscnt 0x0
	global_store_b128 v[22:23], v[14:17], off
	v_add_nc_u32_e32 v12, 0xa2, v4
	v_lshlrev_b64_e32 v[10:11], 4, v[2:3]
	v_dual_mov_b32 v13, v5 :: v_dual_add_nc_u32 v26, 0xbd, v4
	v_add_co_u32 v22, vcc_lo, v31, v0
	s_wait_alu 0xfffd
	v_add_co_ci_u32_e32 v23, vcc_lo, v32, v1, vcc_lo
	s_delay_alu instid0(VALU_DEP_4)
	v_add_co_u32 v24, vcc_lo, v31, v10
	ds_load_b128 v[0:3], v30 offset:1728
	ds_load_b128 v[6:9], v30 offset:2160
	s_wait_alu 0xfffd
	v_add_co_ci_u32_e32 v25, vcc_lo, v32, v11, vcc_lo
	v_lshlrev_b64_e32 v[28:29], 4, v[12:13]
	ds_load_b128 v[10:13], v30 offset:2592
	ds_load_b128 v[14:17], v30 offset:3024
	;; [unrolled: 1-line block ×3, first 2 shown]
	v_add_nc_u32_e32 v4, 0xd8, v4
	v_lshlrev_b64_e32 v[26:27], 4, v[26:27]
	v_add_co_u32 v28, vcc_lo, v31, v28
	s_delay_alu instid0(VALU_DEP_3) | instskip(SKIP_2) | instid1(VALU_DEP_4)
	v_lshlrev_b64_e32 v[4:5], 4, v[4:5]
	s_wait_alu 0xfffd
	v_add_co_ci_u32_e32 v29, vcc_lo, v32, v29, vcc_lo
	v_add_co_u32 v26, vcc_lo, v31, v26
	s_wait_alu 0xfffd
	v_add_co_ci_u32_e32 v27, vcc_lo, v32, v27, vcc_lo
	v_add_co_u32 v4, vcc_lo, v31, v4
	s_wait_alu 0xfffd
	v_add_co_ci_u32_e32 v5, vcc_lo, v32, v5, vcc_lo
	s_wait_dscnt 0x4
	global_store_b128 v[22:23], v[0:3], off
	s_wait_dscnt 0x3
	global_store_b128 v[24:25], v[6:9], off
	;; [unrolled: 2-line block ×5, first 2 shown]
.LBB0_12:
	s_nop 0
	s_sendmsg sendmsg(MSG_DEALLOC_VGPRS)
	s_endpgm
	.section	.rodata,"a",@progbits
	.p2align	6, 0x0
	.amdhsa_kernel fft_rtc_fwd_len243_factors_3_9_9_wgs_108_tpt_27_halfLds_dim1_dp_op_CI_CI_unitstride_sbrr_C2R_dirReg
		.amdhsa_group_segment_fixed_size 0
		.amdhsa_private_segment_fixed_size 0
		.amdhsa_kernarg_size 96
		.amdhsa_user_sgpr_count 2
		.amdhsa_user_sgpr_dispatch_ptr 0
		.amdhsa_user_sgpr_queue_ptr 0
		.amdhsa_user_sgpr_kernarg_segment_ptr 1
		.amdhsa_user_sgpr_dispatch_id 0
		.amdhsa_user_sgpr_private_segment_size 0
		.amdhsa_wavefront_size32 1
		.amdhsa_uses_dynamic_stack 0
		.amdhsa_enable_private_segment 0
		.amdhsa_system_sgpr_workgroup_id_x 1
		.amdhsa_system_sgpr_workgroup_id_y 0
		.amdhsa_system_sgpr_workgroup_id_z 0
		.amdhsa_system_sgpr_workgroup_info 0
		.amdhsa_system_vgpr_workitem_id 0
		.amdhsa_next_free_vgpr 96
		.amdhsa_next_free_sgpr 26
		.amdhsa_reserve_vcc 1
		.amdhsa_float_round_mode_32 0
		.amdhsa_float_round_mode_16_64 0
		.amdhsa_float_denorm_mode_32 3
		.amdhsa_float_denorm_mode_16_64 3
		.amdhsa_fp16_overflow 0
		.amdhsa_workgroup_processor_mode 1
		.amdhsa_memory_ordered 1
		.amdhsa_forward_progress 0
		.amdhsa_round_robin_scheduling 0
		.amdhsa_exception_fp_ieee_invalid_op 0
		.amdhsa_exception_fp_denorm_src 0
		.amdhsa_exception_fp_ieee_div_zero 0
		.amdhsa_exception_fp_ieee_overflow 0
		.amdhsa_exception_fp_ieee_underflow 0
		.amdhsa_exception_fp_ieee_inexact 0
		.amdhsa_exception_int_div_zero 0
	.end_amdhsa_kernel
	.text
.Lfunc_end0:
	.size	fft_rtc_fwd_len243_factors_3_9_9_wgs_108_tpt_27_halfLds_dim1_dp_op_CI_CI_unitstride_sbrr_C2R_dirReg, .Lfunc_end0-fft_rtc_fwd_len243_factors_3_9_9_wgs_108_tpt_27_halfLds_dim1_dp_op_CI_CI_unitstride_sbrr_C2R_dirReg
                                        ; -- End function
	.section	.AMDGPU.csdata,"",@progbits
; Kernel info:
; codeLenInByte = 5456
; NumSgprs: 28
; NumVgprs: 96
; ScratchSize: 0
; MemoryBound: 0
; FloatMode: 240
; IeeeMode: 1
; LDSByteSize: 0 bytes/workgroup (compile time only)
; SGPRBlocks: 3
; VGPRBlocks: 11
; NumSGPRsForWavesPerEU: 28
; NumVGPRsForWavesPerEU: 96
; Occupancy: 16
; WaveLimiterHint : 1
; COMPUTE_PGM_RSRC2:SCRATCH_EN: 0
; COMPUTE_PGM_RSRC2:USER_SGPR: 2
; COMPUTE_PGM_RSRC2:TRAP_HANDLER: 0
; COMPUTE_PGM_RSRC2:TGID_X_EN: 1
; COMPUTE_PGM_RSRC2:TGID_Y_EN: 0
; COMPUTE_PGM_RSRC2:TGID_Z_EN: 0
; COMPUTE_PGM_RSRC2:TIDIG_COMP_CNT: 0
	.text
	.p2alignl 7, 3214868480
	.fill 96, 4, 3214868480
	.type	__hip_cuid_2f536441b67741fe,@object ; @__hip_cuid_2f536441b67741fe
	.section	.bss,"aw",@nobits
	.globl	__hip_cuid_2f536441b67741fe
__hip_cuid_2f536441b67741fe:
	.byte	0                               ; 0x0
	.size	__hip_cuid_2f536441b67741fe, 1

	.ident	"AMD clang version 19.0.0git (https://github.com/RadeonOpenCompute/llvm-project roc-6.4.0 25133 c7fe45cf4b819c5991fe208aaa96edf142730f1d)"
	.section	".note.GNU-stack","",@progbits
	.addrsig
	.addrsig_sym __hip_cuid_2f536441b67741fe
	.amdgpu_metadata
---
amdhsa.kernels:
  - .args:
      - .actual_access:  read_only
        .address_space:  global
        .offset:         0
        .size:           8
        .value_kind:     global_buffer
      - .actual_access:  read_only
        .address_space:  global
        .offset:         8
        .size:           8
        .value_kind:     global_buffer
      - .actual_access:  read_only
        .address_space:  global
        .offset:         16
        .size:           8
        .value_kind:     global_buffer
      - .actual_access:  read_only
        .address_space:  global
        .offset:         24
        .size:           8
        .value_kind:     global_buffer
      - .offset:         32
        .size:           8
        .value_kind:     by_value
      - .actual_access:  read_only
        .address_space:  global
        .offset:         40
        .size:           8
        .value_kind:     global_buffer
      - .actual_access:  read_only
        .address_space:  global
        .offset:         48
        .size:           8
        .value_kind:     global_buffer
      - .offset:         56
        .size:           4
        .value_kind:     by_value
      - .actual_access:  read_only
        .address_space:  global
        .offset:         64
        .size:           8
        .value_kind:     global_buffer
      - .actual_access:  read_only
        .address_space:  global
        .offset:         72
        .size:           8
        .value_kind:     global_buffer
      - .actual_access:  read_only
        .address_space:  global
        .offset:         80
        .size:           8
        .value_kind:     global_buffer
      - .actual_access:  write_only
        .address_space:  global
        .offset:         88
        .size:           8
        .value_kind:     global_buffer
    .group_segment_fixed_size: 0
    .kernarg_segment_align: 8
    .kernarg_segment_size: 96
    .language:       OpenCL C
    .language_version:
      - 2
      - 0
    .max_flat_workgroup_size: 108
    .name:           fft_rtc_fwd_len243_factors_3_9_9_wgs_108_tpt_27_halfLds_dim1_dp_op_CI_CI_unitstride_sbrr_C2R_dirReg
    .private_segment_fixed_size: 0
    .sgpr_count:     28
    .sgpr_spill_count: 0
    .symbol:         fft_rtc_fwd_len243_factors_3_9_9_wgs_108_tpt_27_halfLds_dim1_dp_op_CI_CI_unitstride_sbrr_C2R_dirReg.kd
    .uniform_work_group_size: 1
    .uses_dynamic_stack: false
    .vgpr_count:     96
    .vgpr_spill_count: 0
    .wavefront_size: 32
    .workgroup_processor_mode: 1
amdhsa.target:   amdgcn-amd-amdhsa--gfx1201
amdhsa.version:
  - 1
  - 2
...

	.end_amdgpu_metadata
